;; amdgpu-corpus repo=ROCm/rocFFT kind=compiled arch=gfx1030 opt=O3
	.text
	.amdgcn_target "amdgcn-amd-amdhsa--gfx1030"
	.amdhsa_code_object_version 6
	.protected	fft_rtc_back_len693_factors_11_7_9_wgs_99_tpt_99_halfLds_dp_ip_CI_sbrr_dirReg ; -- Begin function fft_rtc_back_len693_factors_11_7_9_wgs_99_tpt_99_halfLds_dp_ip_CI_sbrr_dirReg
	.globl	fft_rtc_back_len693_factors_11_7_9_wgs_99_tpt_99_halfLds_dp_ip_CI_sbrr_dirReg
	.p2align	8
	.type	fft_rtc_back_len693_factors_11_7_9_wgs_99_tpt_99_halfLds_dp_ip_CI_sbrr_dirReg,@function
fft_rtc_back_len693_factors_11_7_9_wgs_99_tpt_99_halfLds_dp_ip_CI_sbrr_dirReg: ; @fft_rtc_back_len693_factors_11_7_9_wgs_99_tpt_99_halfLds_dp_ip_CI_sbrr_dirReg
; %bb.0:
	s_clause 0x2
	s_load_dwordx2 s[14:15], s[4:5], 0x18
	s_load_dwordx4 s[8:11], s[4:5], 0x0
	s_load_dwordx2 s[12:13], s[4:5], 0x50
	v_mul_u32_u24_e32 v1, 0x296, v0
	v_mov_b32_e32 v3, 0
	v_add_nc_u32_sdwa v5, s6, v1 dst_sel:DWORD dst_unused:UNUSED_PAD src0_sel:DWORD src1_sel:WORD_1
	v_mov_b32_e32 v1, 0
	v_mov_b32_e32 v6, v3
	v_mov_b32_e32 v2, 0
	s_waitcnt lgkmcnt(0)
	s_load_dwordx2 s[2:3], s[14:15], 0x0
	v_cmp_lt_u64_e64 s0, s[10:11], 2
	s_and_b32 vcc_lo, exec_lo, s0
	s_cbranch_vccnz .LBB0_8
; %bb.1:
	s_load_dwordx2 s[0:1], s[4:5], 0x10
	v_mov_b32_e32 v1, 0
	s_add_u32 s6, s14, 8
	v_mov_b32_e32 v2, 0
	s_addc_u32 s7, s15, 0
	s_mov_b64 s[18:19], 1
	s_waitcnt lgkmcnt(0)
	s_add_u32 s16, s0, 8
	s_addc_u32 s17, s1, 0
.LBB0_2:                                ; =>This Inner Loop Header: Depth=1
	s_load_dwordx2 s[20:21], s[16:17], 0x0
                                        ; implicit-def: $vgpr7_vgpr8
	s_mov_b32 s0, exec_lo
	s_waitcnt lgkmcnt(0)
	v_or_b32_e32 v4, s21, v6
	v_cmpx_ne_u64_e32 0, v[3:4]
	s_xor_b32 s1, exec_lo, s0
	s_cbranch_execz .LBB0_4
; %bb.3:                                ;   in Loop: Header=BB0_2 Depth=1
	v_cvt_f32_u32_e32 v4, s20
	v_cvt_f32_u32_e32 v7, s21
	s_sub_u32 s0, 0, s20
	s_subb_u32 s22, 0, s21
	v_fmac_f32_e32 v4, 0x4f800000, v7
	v_rcp_f32_e32 v4, v4
	v_mul_f32_e32 v4, 0x5f7ffffc, v4
	v_mul_f32_e32 v7, 0x2f800000, v4
	v_trunc_f32_e32 v7, v7
	v_fmac_f32_e32 v4, 0xcf800000, v7
	v_cvt_u32_f32_e32 v7, v7
	v_cvt_u32_f32_e32 v4, v4
	v_mul_lo_u32 v8, s0, v7
	v_mul_hi_u32 v9, s0, v4
	v_mul_lo_u32 v10, s22, v4
	v_add_nc_u32_e32 v8, v9, v8
	v_mul_lo_u32 v9, s0, v4
	v_add_nc_u32_e32 v8, v8, v10
	v_mul_hi_u32 v10, v4, v9
	v_mul_lo_u32 v11, v4, v8
	v_mul_hi_u32 v12, v4, v8
	v_mul_hi_u32 v13, v7, v9
	v_mul_lo_u32 v9, v7, v9
	v_mul_hi_u32 v14, v7, v8
	v_mul_lo_u32 v8, v7, v8
	v_add_co_u32 v10, vcc_lo, v10, v11
	v_add_co_ci_u32_e32 v11, vcc_lo, 0, v12, vcc_lo
	v_add_co_u32 v9, vcc_lo, v10, v9
	v_add_co_ci_u32_e32 v9, vcc_lo, v11, v13, vcc_lo
	v_add_co_ci_u32_e32 v10, vcc_lo, 0, v14, vcc_lo
	v_add_co_u32 v8, vcc_lo, v9, v8
	v_add_co_ci_u32_e32 v9, vcc_lo, 0, v10, vcc_lo
	v_add_co_u32 v4, vcc_lo, v4, v8
	v_add_co_ci_u32_e32 v7, vcc_lo, v7, v9, vcc_lo
	v_mul_hi_u32 v8, s0, v4
	v_mul_lo_u32 v10, s22, v4
	v_mul_lo_u32 v9, s0, v7
	v_add_nc_u32_e32 v8, v8, v9
	v_mul_lo_u32 v9, s0, v4
	v_add_nc_u32_e32 v8, v8, v10
	v_mul_hi_u32 v10, v4, v9
	v_mul_lo_u32 v11, v4, v8
	v_mul_hi_u32 v12, v4, v8
	v_mul_hi_u32 v13, v7, v9
	v_mul_lo_u32 v9, v7, v9
	v_mul_hi_u32 v14, v7, v8
	v_mul_lo_u32 v8, v7, v8
	v_add_co_u32 v10, vcc_lo, v10, v11
	v_add_co_ci_u32_e32 v11, vcc_lo, 0, v12, vcc_lo
	v_add_co_u32 v9, vcc_lo, v10, v9
	v_add_co_ci_u32_e32 v9, vcc_lo, v11, v13, vcc_lo
	v_add_co_ci_u32_e32 v10, vcc_lo, 0, v14, vcc_lo
	v_add_co_u32 v8, vcc_lo, v9, v8
	v_add_co_ci_u32_e32 v9, vcc_lo, 0, v10, vcc_lo
	v_add_co_u32 v4, vcc_lo, v4, v8
	v_add_co_ci_u32_e32 v11, vcc_lo, v7, v9, vcc_lo
	v_mul_hi_u32 v13, v5, v4
	v_mad_u64_u32 v[9:10], null, v6, v4, 0
	v_mad_u64_u32 v[7:8], null, v5, v11, 0
	;; [unrolled: 1-line block ×3, first 2 shown]
	v_add_co_u32 v4, vcc_lo, v13, v7
	v_add_co_ci_u32_e32 v7, vcc_lo, 0, v8, vcc_lo
	v_add_co_u32 v4, vcc_lo, v4, v9
	v_add_co_ci_u32_e32 v4, vcc_lo, v7, v10, vcc_lo
	v_add_co_ci_u32_e32 v7, vcc_lo, 0, v12, vcc_lo
	v_add_co_u32 v4, vcc_lo, v4, v11
	v_add_co_ci_u32_e32 v9, vcc_lo, 0, v7, vcc_lo
	v_mul_lo_u32 v10, s21, v4
	v_mad_u64_u32 v[7:8], null, s20, v4, 0
	v_mul_lo_u32 v11, s20, v9
	v_sub_co_u32 v7, vcc_lo, v5, v7
	v_add3_u32 v8, v8, v11, v10
	v_sub_nc_u32_e32 v10, v6, v8
	v_subrev_co_ci_u32_e64 v10, s0, s21, v10, vcc_lo
	v_add_co_u32 v11, s0, v4, 2
	v_add_co_ci_u32_e64 v12, s0, 0, v9, s0
	v_sub_co_u32 v13, s0, v7, s20
	v_sub_co_ci_u32_e32 v8, vcc_lo, v6, v8, vcc_lo
	v_subrev_co_ci_u32_e64 v10, s0, 0, v10, s0
	v_cmp_le_u32_e32 vcc_lo, s20, v13
	v_cmp_eq_u32_e64 s0, s21, v8
	v_cndmask_b32_e64 v13, 0, -1, vcc_lo
	v_cmp_le_u32_e32 vcc_lo, s21, v10
	v_cndmask_b32_e64 v14, 0, -1, vcc_lo
	v_cmp_le_u32_e32 vcc_lo, s20, v7
	;; [unrolled: 2-line block ×3, first 2 shown]
	v_cndmask_b32_e64 v15, 0, -1, vcc_lo
	v_cmp_eq_u32_e32 vcc_lo, s21, v10
	v_cndmask_b32_e64 v7, v15, v7, s0
	v_cndmask_b32_e32 v10, v14, v13, vcc_lo
	v_add_co_u32 v13, vcc_lo, v4, 1
	v_add_co_ci_u32_e32 v14, vcc_lo, 0, v9, vcc_lo
	v_cmp_ne_u32_e32 vcc_lo, 0, v10
	v_cndmask_b32_e32 v8, v14, v12, vcc_lo
	v_cndmask_b32_e32 v10, v13, v11, vcc_lo
	v_cmp_ne_u32_e32 vcc_lo, 0, v7
	v_cndmask_b32_e32 v8, v9, v8, vcc_lo
	v_cndmask_b32_e32 v7, v4, v10, vcc_lo
.LBB0_4:                                ;   in Loop: Header=BB0_2 Depth=1
	s_andn2_saveexec_b32 s0, s1
	s_cbranch_execz .LBB0_6
; %bb.5:                                ;   in Loop: Header=BB0_2 Depth=1
	v_cvt_f32_u32_e32 v4, s20
	s_sub_i32 s1, 0, s20
	v_rcp_iflag_f32_e32 v4, v4
	v_mul_f32_e32 v4, 0x4f7ffffe, v4
	v_cvt_u32_f32_e32 v4, v4
	v_mul_lo_u32 v7, s1, v4
	v_mul_hi_u32 v7, v4, v7
	v_add_nc_u32_e32 v4, v4, v7
	v_mul_hi_u32 v4, v5, v4
	v_mul_lo_u32 v7, v4, s20
	v_add_nc_u32_e32 v8, 1, v4
	v_sub_nc_u32_e32 v7, v5, v7
	v_subrev_nc_u32_e32 v9, s20, v7
	v_cmp_le_u32_e32 vcc_lo, s20, v7
	v_cndmask_b32_e32 v7, v7, v9, vcc_lo
	v_cndmask_b32_e32 v4, v4, v8, vcc_lo
	v_cmp_le_u32_e32 vcc_lo, s20, v7
	v_add_nc_u32_e32 v8, 1, v4
	v_cndmask_b32_e32 v7, v4, v8, vcc_lo
	v_mov_b32_e32 v8, v3
.LBB0_6:                                ;   in Loop: Header=BB0_2 Depth=1
	s_or_b32 exec_lo, exec_lo, s0
	s_load_dwordx2 s[0:1], s[6:7], 0x0
	v_mul_lo_u32 v4, v8, s20
	v_mul_lo_u32 v11, v7, s21
	v_mad_u64_u32 v[9:10], null, v7, s20, 0
	s_add_u32 s18, s18, 1
	s_addc_u32 s19, s19, 0
	s_add_u32 s6, s6, 8
	s_addc_u32 s7, s7, 0
	;; [unrolled: 2-line block ×3, first 2 shown]
	v_add3_u32 v4, v10, v11, v4
	v_sub_co_u32 v5, vcc_lo, v5, v9
	v_sub_co_ci_u32_e32 v4, vcc_lo, v6, v4, vcc_lo
	s_waitcnt lgkmcnt(0)
	v_mul_lo_u32 v6, s1, v5
	v_mul_lo_u32 v4, s0, v4
	v_mad_u64_u32 v[1:2], null, s0, v5, v[1:2]
	v_cmp_ge_u64_e64 s0, s[18:19], s[10:11]
	s_and_b32 vcc_lo, exec_lo, s0
	v_add3_u32 v2, v6, v2, v4
	s_cbranch_vccnz .LBB0_9
; %bb.7:                                ;   in Loop: Header=BB0_2 Depth=1
	v_mov_b32_e32 v5, v7
	v_mov_b32_e32 v6, v8
	s_branch .LBB0_2
.LBB0_8:
	v_mov_b32_e32 v8, v6
	v_mov_b32_e32 v7, v5
.LBB0_9:
	s_lshl_b64 s[0:1], s[10:11], 3
	v_mul_hi_u32 v3, 0x295fad5, v0
	s_add_u32 s0, s14, s0
	s_addc_u32 s1, s15, s1
                                        ; implicit-def: $vgpr12_vgpr13
                                        ; implicit-def: $vgpr16_vgpr17
                                        ; implicit-def: $vgpr20_vgpr21
                                        ; implicit-def: $vgpr24_vgpr25
                                        ; implicit-def: $vgpr28_vgpr29
                                        ; implicit-def: $vgpr32_vgpr33
                                        ; implicit-def: $vgpr48_vgpr49
                                        ; implicit-def: $vgpr40_vgpr41
                                        ; implicit-def: $vgpr44_vgpr45
                                        ; implicit-def: $vgpr36_vgpr37
	s_load_dwordx2 s[0:1], s[0:1], 0x0
	s_load_dwordx2 s[4:5], s[4:5], 0x20
	v_mul_u32_u24_e32 v3, 0x63, v3
	v_sub_nc_u32_e32 v90, v0, v3
	s_waitcnt lgkmcnt(0)
	v_mul_lo_u32 v4, s0, v8
	v_mul_lo_u32 v5, s1, v7
	v_mad_u64_u32 v[1:2], null, s0, v7, v[1:2]
	v_cmp_gt_u64_e32 vcc_lo, s[4:5], v[7:8]
	v_cmp_gt_u32_e64 s0, 63, v90
                                        ; implicit-def: $vgpr8_vgpr9
	s_and_b32 s1, vcc_lo, s0
	v_add3_u32 v2, v5, v2, v4
	v_lshlrev_b64 v[62:63], 4, v[1:2]
	s_and_saveexec_b32 s4, s1
	s_cbranch_execz .LBB0_11
; %bb.10:
	v_add_nc_u32_e32 v8, 63, v90
	v_add_nc_u32_e32 v9, 0x7e, v90
	v_mad_u64_u32 v[0:1], null, s2, v90, 0
	v_add_nc_u32_e32 v14, 0xbd, v90
	v_mad_u64_u32 v[2:3], null, s2, v8, 0
	v_mad_u64_u32 v[4:5], null, s2, v9, 0
	;; [unrolled: 1-line block ×3, first 2 shown]
	v_add_co_u32 v20, s1, s12, v62
	v_mad_u64_u32 v[6:7], null, s3, v90, v[1:2]
	v_mad_u64_u32 v[7:8], null, s3, v8, v[3:4]
	v_add_co_ci_u32_e64 v21, s1, s13, v63, s1
	v_add_nc_u32_e32 v17, 0xfc, v90
	v_add_nc_u32_e32 v18, 0x13b, v90
	v_mov_b32_e32 v1, v6
	v_mov_b32_e32 v6, v11
	v_mov_b32_e32 v3, v7
	v_mad_u64_u32 v[12:13], null, s2, v17, 0
	v_lshlrev_b64 v[0:1], 4, v[0:1]
	v_mad_u64_u32 v[7:8], null, s3, v9, v[5:6]
	v_lshlrev_b64 v[2:3], 4, v[2:3]
	v_add_nc_u32_e32 v19, 0x1f8, v90
	v_add_nc_u32_e32 v22, 0x237, v90
	v_add_co_u32 v0, s1, v20, v0
	v_add_co_ci_u32_e64 v1, s1, v21, v1, s1
	v_add_co_u32 v2, s1, v20, v2
	v_add_co_ci_u32_e64 v3, s1, v21, v3, s1
	v_mov_b32_e32 v5, v7
	v_mad_u64_u32 v[14:15], null, s3, v14, v[6:7]
	s_clause 0x1
	global_load_dwordx4 v[6:9], v[0:1], off
	global_load_dwordx4 v[34:37], v[2:3], off
	v_mov_b32_e32 v11, v13
	v_mad_u64_u32 v[15:16], null, s2, v18, 0
	v_lshlrev_b64 v[0:1], 4, v[4:5]
	v_add_nc_u32_e32 v23, 0x276, v90
	v_mad_u64_u32 v[2:3], null, s3, v17, v[11:12]
	v_mov_b32_e32 v11, v14
	v_add_nc_u32_e32 v14, 0x17a, v90
	v_mov_b32_e32 v3, v16
	v_add_co_u32 v0, s1, v20, v0
	v_lshlrev_b64 v[4:5], 4, v[10:11]
	v_mov_b32_e32 v13, v2
	v_add_co_ci_u32_e64 v1, s1, v21, v1, s1
	v_mad_u64_u32 v[2:3], null, s3, v18, v[3:4]
	v_lshlrev_b64 v[10:11], 4, v[12:13]
	v_mad_u64_u32 v[12:13], null, s2, v14, 0
	v_add_co_u32 v3, s1, v20, v4
	v_add_co_ci_u32_e64 v4, s1, v21, v5, s1
	v_mov_b32_e32 v16, v2
	s_clause 0x1
	global_load_dwordx4 v[42:45], v[0:1], off
	global_load_dwordx4 v[38:41], v[3:4], off
	v_mov_b32_e32 v2, v13
	v_add_nc_u32_e32 v18, 0x1b9, v90
	v_lshlrev_b64 v[3:4], 4, v[15:16]
	v_add_co_u32 v0, s1, v20, v10
	v_add_co_ci_u32_e64 v1, s1, v21, v11, s1
	v_mad_u64_u32 v[16:17], null, s2, v19, 0
	v_mad_u64_u32 v[10:11], null, s3, v14, v[2:3]
	;; [unrolled: 1-line block ×3, first 2 shown]
	v_add_co_u32 v2, s1, v20, v3
	v_add_co_ci_u32_e64 v3, s1, v21, v4, s1
	v_mov_b32_e32 v5, v17
	v_mov_b32_e32 v13, v10
	;; [unrolled: 1-line block ×3, first 2 shown]
	v_mad_u64_u32 v[10:11], null, s2, v22, 0
	s_clause 0x1
	global_load_dwordx4 v[46:49], v[0:1], off
	global_load_dwordx4 v[30:33], v[2:3], off
	v_lshlrev_b64 v[1:2], 4, v[12:13]
	v_mad_u64_u32 v[17:18], null, s3, v18, v[4:5]
	v_mov_b32_e32 v0, v11
	v_mov_b32_e32 v15, v17
	s_waitcnt vmcnt(5)
	v_mad_u64_u32 v[4:5], null, s3, v19, v[5:6]
	v_mad_u64_u32 v[18:19], null, s2, v23, 0
	v_mov_b32_e32 v17, v4
	v_mad_u64_u32 v[3:4], null, s3, v22, v[0:1]
	v_mov_b32_e32 v0, v19
	v_add_co_u32 v1, s1, v20, v1
	v_lshlrev_b64 v[4:5], 4, v[14:15]
	v_add_co_ci_u32_e64 v2, s1, v21, v2, s1
	v_mad_u64_u32 v[12:13], null, s3, v23, v[0:1]
	v_lshlrev_b64 v[13:14], 4, v[16:17]
	v_mov_b32_e32 v11, v3
	v_add_co_u32 v3, s1, v20, v4
	v_add_co_ci_u32_e64 v4, s1, v21, v5, s1
	v_mov_b32_e32 v19, v12
	v_lshlrev_b64 v[10:11], 4, v[10:11]
	v_add_co_u32 v12, s1, v20, v13
	v_add_co_ci_u32_e64 v13, s1, v21, v14, s1
	v_lshlrev_b64 v[14:15], 4, v[18:19]
	v_add_co_u32 v10, s1, v20, v10
	v_add_co_ci_u32_e64 v11, s1, v21, v11, s1
	v_add_co_u32 v50, s1, v20, v14
	v_add_co_ci_u32_e64 v51, s1, v21, v15, s1
	s_clause 0x4
	global_load_dwordx4 v[26:29], v[1:2], off
	global_load_dwordx4 v[22:25], v[3:4], off
	;; [unrolled: 1-line block ×5, first 2 shown]
.LBB0_11:
	s_or_b32 exec_lo, exec_lo, s4
	s_waitcnt vmcnt(0)
	v_add_f64 v[0:1], v[36:37], -v[12:13]
	s_mov_b32 s18, 0x43842ef
	s_mov_b32 s16, 0xbb3a28a1
	;; [unrolled: 1-line block ×4, first 2 shown]
	v_add_f64 v[50:51], v[10:11], v[34:35]
	v_add_f64 v[4:5], v[44:45], -v[16:17]
	s_mov_b32 s10, 0x640f44db
	s_mov_b32 s24, 0xfd768dbf
	;; [unrolled: 1-line block ×8, first 2 shown]
	v_add_f64 v[66:67], v[14:15], v[42:43]
	v_add_f64 v[52:53], v[40:41], -v[20:21]
	s_mov_b32 s14, 0x9bcd5057
	s_mov_b32 s22, 0x8eee2c13
	;; [unrolled: 1-line block ×5, first 2 shown]
	v_mul_f64 v[58:59], v[0:1], s[18:19]
	v_mul_f64 v[60:61], v[0:1], s[16:17]
	s_mov_b32 s29, 0xbfe14ced
	v_add_f64 v[76:77], v[18:19], v[38:39]
	v_add_f64 v[54:55], v[48:49], -v[24:25]
	s_mov_b32 s6, 0xd9c712b6
	v_mul_f64 v[68:69], v[4:5], s[24:25]
	v_mul_f64 v[70:71], v[4:5], s[26:27]
	s_mov_b32 s20, 0x8764f0ba
	s_mov_b32 s7, 0x3fda9628
	;; [unrolled: 1-line block ×5, first 2 shown]
	v_add_f64 v[80:81], v[22:23], v[46:47]
	v_add_f64 v[86:87], v[26:27], v[30:31]
	v_mul_f64 v[84:85], v[52:53], s[22:23]
	v_mul_f64 v[88:89], v[52:53], s[28:29]
	v_fma_f64 v[2:3], v[50:51], s[10:11], -v[58:59]
	v_fma_f64 v[56:57], v[50:51], s[4:5], -v[60:61]
	v_mul_f64 v[78:79], v[54:55], s[28:29]
	v_mul_f64 v[82:83], v[54:55], s[30:31]
	v_fma_f64 v[64:65], v[66:67], s[14:15], -v[68:69]
	v_fma_f64 v[72:73], v[66:67], s[10:11], -v[70:71]
	;; [unrolled: 1-line block ×4, first 2 shown]
	v_add_f64 v[2:3], v[6:7], v[2:3]
	v_add_f64 v[74:75], v[6:7], v[56:57]
	v_add_f64 v[56:57], v[32:33], -v[28:29]
	v_fma_f64 v[95:96], v[80:81], s[20:21], -v[78:79]
	v_fma_f64 v[97:98], v[80:81], s[14:15], -v[82:83]
	v_add_f64 v[2:3], v[64:65], v[2:3]
	v_add_f64 v[64:65], v[72:73], v[74:75]
	v_mul_f64 v[72:73], v[56:57], s[16:17]
	v_mul_f64 v[74:75], v[56:57], s[22:23]
	v_add_f64 v[2:3], v[91:92], v[2:3]
	v_add_f64 v[64:65], v[93:94], v[64:65]
	v_fma_f64 v[91:92], v[86:87], s[4:5], -v[72:73]
	v_fma_f64 v[93:94], v[86:87], s[6:7], -v[74:75]
	v_add_f64 v[2:3], v[95:96], v[2:3]
	v_add_f64 v[95:96], v[97:98], v[64:65]
	;; [unrolled: 1-line block ×4, first 2 shown]
	s_and_saveexec_b32 s1, s0
	s_cbranch_execz .LBB0_13
; %bb.12:
	v_add_f64 v[91:92], v[34:35], v[6:7]
	v_mul_f64 v[93:94], v[50:51], s[14:15]
	v_mul_f64 v[95:96], v[50:51], s[10:11]
	;; [unrolled: 1-line block ×5, first 2 shown]
	s_mov_b32 s37, 0xbfed1bb4
	s_mov_b32 s36, s22
	v_mul_f64 v[103:104], v[76:77], s[20:21]
	v_mul_f64 v[105:106], v[66:67], s[10:11]
	;; [unrolled: 1-line block ×6, first 2 shown]
	s_mov_b32 s35, 0x3fe14ced
	s_mov_b32 s34, s28
	;; [unrolled: 1-line block ×4, first 2 shown]
	v_mul_f64 v[109:110], v[76:77], s[6:7]
	v_mul_f64 v[119:120], v[76:77], s[14:15]
	;; [unrolled: 1-line block ×4, first 2 shown]
	v_add_f64 v[91:92], v[42:43], v[91:92]
	v_fma_f64 v[115:116], v[0:1], s[24:25], v[93:94]
	v_fma_f64 v[93:94], v[0:1], s[30:31], v[93:94]
	v_add_f64 v[58:59], v[58:59], v[95:96]
	v_fma_f64 v[95:96], v[0:1], s[36:37], v[97:98]
	v_add_f64 v[60:61], v[60:61], v[99:100]
	v_fma_f64 v[97:98], v[0:1], s[22:23], v[97:98]
	v_fma_f64 v[99:100], v[0:1], s[28:29], v[50:51]
	;; [unrolled: 1-line block ×3, first 2 shown]
	v_add_f64 v[88:89], v[88:89], v[103:104]
	v_add_f64 v[70:71], v[70:71], v[105:106]
	;; [unrolled: 1-line block ×3, first 2 shown]
	v_fma_f64 v[103:104], v[4:5], s[28:29], v[113:114]
	v_fma_f64 v[111:112], v[4:5], s[34:35], v[113:114]
	;; [unrolled: 1-line block ×3, first 2 shown]
	v_mul_f64 v[50:51], v[76:77], s[4:5]
	v_mul_f64 v[76:77], v[76:77], s[10:11]
	v_add_f64 v[78:79], v[78:79], v[107:108]
	v_add_f64 v[82:83], v[82:83], v[101:102]
	;; [unrolled: 1-line block ×4, first 2 shown]
	v_fma_f64 v[115:116], v[4:5], s[16:17], v[117:118]
	v_fma_f64 v[117:118], v[4:5], s[22:23], v[66:67]
	v_fma_f64 v[4:5], v[4:5], s[36:37], v[66:67]
	v_add_f64 v[66:67], v[6:7], v[93:94]
	v_add_f64 v[58:59], v[6:7], v[58:59]
	;; [unrolled: 1-line block ×8, first 2 shown]
	v_fma_f64 v[109:110], v[52:53], s[24:25], v[119:120]
	v_fma_f64 v[99:100], v[52:53], s[30:31], v[119:120]
	;; [unrolled: 1-line block ×6, first 2 shown]
	v_mul_f64 v[76:77], v[80:81], s[6:7]
	v_add_f64 v[91:92], v[46:47], v[91:92]
	v_add_f64 v[103:104], v[103:104], v[105:106]
	v_mul_f64 v[105:106], v[80:81], s[10:11]
	v_mul_f64 v[80:81], v[80:81], s[4:5]
	v_add_f64 v[66:67], v[111:112], v[66:67]
	v_add_f64 v[58:59], v[68:69], v[58:59]
	v_add_f64 v[68:69], v[115:116], v[93:94]
	v_add_f64 v[60:61], v[70:71], v[60:61]
	v_add_f64 v[70:71], v[113:114], v[95:96]
	v_add_f64 v[4:5], v[4:5], v[97:98]
	v_add_f64 v[0:1], v[117:118], v[0:1]
	v_mul_f64 v[95:96], v[86:87], s[4:5]
	v_mul_f64 v[111:112], v[86:87], s[20:21]
	;; [unrolled: 1-line block ×5, first 2 shown]
	v_fma_f64 v[101:102], v[54:55], s[36:37], v[76:77]
	v_fma_f64 v[76:77], v[54:55], s[22:23], v[76:77]
	v_add_f64 v[91:92], v[30:31], v[91:92]
	v_fma_f64 v[107:108], v[54:55], s[26:27], v[105:106]
	v_fma_f64 v[105:106], v[54:55], s[18:19], v[105:106]
	;; [unrolled: 1-line block ×3, first 2 shown]
	v_add_f64 v[50:51], v[50:51], v[66:67]
	v_add_f64 v[6:7], v[6:7], v[58:59]
	;; [unrolled: 1-line block ×4, first 2 shown]
	v_fma_f64 v[54:55], v[54:55], s[16:17], v[80:81]
	v_add_f64 v[80:81], v[84:85], v[103:104]
	v_add_f64 v[66:67], v[99:100], v[70:71]
	;; [unrolled: 1-line block ×5, first 2 shown]
	v_fma_f64 v[88:89], v[56:57], s[34:35], v[111:112]
	v_add_f64 v[68:69], v[74:75], v[93:94]
	v_fma_f64 v[74:75], v[56:57], s[18:19], v[97:98]
	v_fma_f64 v[72:73], v[56:57], s[26:27], v[97:98]
	;; [unrolled: 1-line block ×3, first 2 shown]
	v_add_f64 v[91:92], v[26:27], v[91:92]
	v_add_f64 v[50:51], v[76:77], v[50:51]
	;; [unrolled: 1-line block ×17, first 2 shown]
	v_fma_f64 v[91:92], v[56:57], s[24:25], v[86:87]
	v_fma_f64 v[56:57], v[56:57], s[30:31], v[86:87]
	v_add_f64 v[52:53], v[14:15], v[52:53]
	v_add_f64 v[0:1], v[91:92], v[0:1]
	;; [unrolled: 1-line block ×3, first 2 shown]
	v_mad_u32_u24 v56, 0x58, v90, 0
	v_add_f64 v[52:53], v[10:11], v[52:53]
	ds_write2_b64 v56, v[58:59], v[6:7] offset0:2 offset1:3
	ds_write2_b64 v56, v[60:61], v[50:51] offset0:4 offset1:5
	;; [unrolled: 1-line block ×4, first 2 shown]
	ds_write2_b64 v56, v[52:53], v[4:5] offset1:1
	ds_write_b64 v56, v[0:1] offset:80
.LBB0_13:
	s_or_b32 exec_lo, exec_lo, s1
	v_add_f64 v[84:85], v[34:35], -v[10:11]
	v_add_f64 v[82:83], v[42:43], -v[14:15]
	v_add_f64 v[76:77], v[12:13], v[36:37]
	v_add_f64 v[70:71], v[38:39], -v[18:19]
	v_add_f64 v[68:69], v[16:17], v[44:45]
	v_add_f64 v[38:39], v[20:21], v[40:41]
	v_add_f64 v[66:67], v[46:47], -v[22:23]
	v_add_f64 v[10:11], v[24:25], v[48:49]
	v_add_f64 v[30:31], v[30:31], -v[26:27]
	v_lshl_add_u32 v86, v90, 3, 0
	s_waitcnt lgkmcnt(0)
	s_barrier
	buffer_gl0_inv
	v_add_nc_u32_e32 v87, 0x400, v86
	v_add_nc_u32_e32 v88, 0x800, v86
	v_mul_f64 v[78:79], v[84:85], s[18:19]
	v_mul_f64 v[80:81], v[84:85], s[16:17]
	v_mul_f64 v[72:73], v[82:83], s[24:25]
	v_mul_f64 v[74:75], v[82:83], s[26:27]
	v_mul_f64 v[42:43], v[70:71], s[22:23]
	v_mul_f64 v[46:47], v[70:71], s[28:29]
	v_mul_f64 v[22:23], v[66:67], s[28:29]
	v_mul_f64 v[26:27], v[66:67], s[30:31]
	v_mul_f64 v[18:19], v[30:31], s[22:23]
	v_fma_f64 v[0:1], v[76:77], s[10:11], v[78:79]
	v_fma_f64 v[4:5], v[76:77], s[4:5], v[80:81]
	;; [unrolled: 1-line block ×8, first 2 shown]
	v_add_f64 v[0:1], v[8:9], v[0:1]
	v_add_f64 v[4:5], v[8:9], v[4:5]
	;; [unrolled: 1-line block ×5, first 2 shown]
	v_mul_f64 v[14:15], v[30:31], s[16:17]
	v_add_f64 v[0:1], v[34:35], v[0:1]
	v_add_f64 v[6:7], v[50:51], v[6:7]
	v_fma_f64 v[56:57], v[4:5], s[6:7], v[18:19]
	v_fma_f64 v[34:35], v[4:5], s[4:5], v[14:15]
	v_add_f64 v[0:1], v[52:53], v[0:1]
	v_add_f64 v[6:7], v[54:55], v[6:7]
	ds_read2_b64 v[50:53], v86 offset1:99
	v_add_f64 v[34:35], v[34:35], v[0:1]
	v_add_f64 v[6:7], v[56:57], v[6:7]
	ds_read2_b64 v[58:61], v87 offset0:70 offset1:169
	ds_read2_b64 v[54:57], v88 offset0:140 offset1:239
	ds_read_b64 v[0:1], v86 offset:4752
	s_waitcnt lgkmcnt(0)
	s_barrier
	buffer_gl0_inv
	s_and_saveexec_b32 s28, s0
	s_cbranch_execz .LBB0_15
; %bb.14:
	v_add_f64 v[36:37], v[36:37], v[8:9]
	s_mov_b32 s23, 0xbfed1bb4
	s_mov_b32 s22, 0x8eee2c13
	;; [unrolled: 1-line block ×3, first 2 shown]
	v_mul_f64 v[93:94], v[68:69], s[10:11]
	s_mov_b32 s19, 0xbfd207e7
	v_mul_f64 v[105:106], v[84:85], s[22:23]
	s_mov_b32 s16, 0xd9c712b6
	s_mov_b32 s30, 0xbb3a28a1
	;; [unrolled: 1-line block ×6, first 2 shown]
	v_mul_f64 v[91:92], v[68:69], s[14:15]
	v_mul_f64 v[107:108], v[82:83], s[30:31]
	;; [unrolled: 1-line block ×4, first 2 shown]
	s_mov_b32 s20, 0x7f775887
	s_mov_b32 s26, 0x43842ef
	s_mov_b32 s21, 0xbfe4f49e
	s_mov_b32 s27, 0xbfefac9e
	s_mov_b32 s35, 0x3fd207e7
	v_add_f64 v[36:37], v[44:45], v[36:37]
	v_mul_f64 v[44:45], v[76:77], s[4:5]
	s_mov_b32 s34, s18
	v_mul_f64 v[95:96], v[38:39], s[6:7]
	v_add_f64 v[74:75], v[93:94], -v[74:75]
	s_mov_b32 s24, 0x640f44db
	s_mov_b32 s37, 0x3fefac9e
	;; [unrolled: 1-line block ×4, first 2 shown]
	v_mul_f64 v[101:102], v[10:11], s[14:15]
	v_add_f64 v[72:73], v[91:92], -v[72:73]
	v_fma_f64 v[93:94], v[68:69], s[20:21], -v[107:108]
	v_fma_f64 v[107:108], v[68:69], s[20:21], v[107:108]
	v_add_f64 v[46:47], v[97:98], -v[46:47]
	v_add_f64 v[22:23], v[99:100], -v[22:23]
	v_add_f64 v[36:37], v[40:41], v[36:37]
	v_mul_f64 v[40:41], v[76:77], s[10:11]
	s_mov_b32 s11, 0xbfe14ced
	s_mov_b32 s10, 0xf8bb580b
	v_add_f64 v[44:45], v[44:45], -v[80:81]
	v_mul_f64 v[103:104], v[84:85], s[10:11]
	v_mul_f64 v[84:85], v[84:85], s[18:19]
	s_mov_b32 s11, 0x3fe14ced
	v_fma_f64 v[80:81], v[76:77], s[16:17], -v[105:106]
	v_fma_f64 v[105:106], v[76:77], s[16:17], v[105:106]
	v_add_f64 v[42:43], v[95:96], -v[42:43]
	v_add_f64 v[26:27], v[101:102], -v[26:27]
	v_add_f64 v[36:37], v[48:49], v[36:37]
	v_add_f64 v[40:41], v[40:41], -v[78:79]
	v_mul_f64 v[48:49], v[82:83], s[22:23]
	v_mul_f64 v[82:83], v[82:83], s[10:11]
	v_add_f64 v[44:45], v[8:9], v[44:45]
	v_fma_f64 v[78:79], v[76:77], s[0:1], -v[103:104]
	v_fma_f64 v[109:110], v[76:77], s[14:15], -v[84:85]
	v_fma_f64 v[84:85], v[76:77], s[14:15], v[84:85]
	v_add_f64 v[80:81], v[8:9], v[80:81]
	v_add_f64 v[105:106], v[8:9], v[105:106]
	s_mov_b32 s23, 0x3fed1bb4
	v_add_f64 v[32:33], v[32:33], v[36:37]
	v_fma_f64 v[36:37], v[76:77], s[0:1], v[103:104]
	v_mul_f64 v[76:77], v[70:71], s[26:27]
	v_mul_f64 v[103:104], v[70:71], s[30:31]
	;; [unrolled: 1-line block ×3, first 2 shown]
	v_add_f64 v[40:41], v[8:9], v[40:41]
	v_fma_f64 v[91:92], v[68:69], s[16:17], -v[48:49]
	v_fma_f64 v[48:49], v[68:69], s[16:17], v[48:49]
	v_fma_f64 v[111:112], v[68:69], s[0:1], -v[82:83]
	v_fma_f64 v[68:69], v[68:69], s[0:1], v[82:83]
	v_add_f64 v[78:79], v[8:9], v[78:79]
	v_add_f64 v[82:83], v[8:9], v[109:110]
	;; [unrolled: 1-line block ×6, first 2 shown]
	v_mul_f64 v[36:37], v[66:67], s[36:37]
	v_mul_f64 v[32:33], v[66:67], s[30:31]
	v_fma_f64 v[109:110], v[38:39], s[14:15], -v[70:71]
	v_add_f64 v[40:41], v[72:73], v[40:41]
	v_add_f64 v[72:73], v[93:94], v[80:81]
	v_mul_f64 v[66:67], v[66:67], s[22:23]
	v_fma_f64 v[95:96], v[38:39], s[24:25], -v[76:77]
	v_fma_f64 v[76:77], v[38:39], s[24:25], v[76:77]
	v_fma_f64 v[97:98], v[38:39], s[20:21], -v[103:104]
	v_fma_f64 v[103:104], v[38:39], s[20:21], v[103:104]
	v_fma_f64 v[38:39], v[38:39], s[14:15], v[70:71]
	v_add_f64 v[70:71], v[91:92], v[78:79]
	v_add_f64 v[74:75], v[111:112], v[82:83]
	;; [unrolled: 1-line block ×4, first 2 shown]
	v_mul_f64 v[80:81], v[30:31], s[18:19]
	v_mul_f64 v[82:83], v[30:31], s[26:27]
	;; [unrolled: 1-line block ×3, first 2 shown]
	v_add_f64 v[24:25], v[24:25], v[28:29]
	v_add_f64 v[8:9], v[48:49], v[8:9]
	v_mul_f64 v[28:29], v[4:5], s[4:5]
	v_fma_f64 v[91:92], v[10:11], s[24:25], -v[36:37]
	v_mul_f64 v[48:49], v[4:5], s[6:7]
	v_add_f64 v[40:41], v[42:43], v[40:41]
	v_add_f64 v[42:43], v[46:47], v[44:45]
	;; [unrolled: 1-line block ×3, first 2 shown]
	v_fma_f64 v[84:85], v[10:11], s[20:21], -v[32:33]
	v_fma_f64 v[32:33], v[10:11], s[20:21], v[32:33]
	v_fma_f64 v[36:37], v[10:11], s[24:25], v[36:37]
	v_fma_f64 v[93:94], v[10:11], s[16:17], -v[66:67]
	v_fma_f64 v[10:11], v[10:11], s[16:17], v[66:67]
	v_add_f64 v[44:45], v[95:96], v[70:71]
	v_add_f64 v[66:67], v[97:98], v[74:75]
	;; [unrolled: 1-line block ×4, first 2 shown]
	v_fma_f64 v[70:71], v[4:5], s[24:25], v[82:83]
	v_fma_f64 v[72:73], v[4:5], s[0:1], -v[30:31]
	v_add_f64 v[20:21], v[20:21], v[24:25]
	v_add_f64 v[8:9], v[76:77], v[8:9]
	v_add_f64 v[14:15], v[28:29], -v[14:15]
	v_fma_f64 v[24:25], v[4:5], s[14:15], -v[80:81]
	v_add_f64 v[18:19], v[48:49], -v[18:19]
	v_add_f64 v[22:23], v[22:23], v[40:41]
	v_fma_f64 v[28:29], v[4:5], s[14:15], v[80:81]
	v_add_f64 v[40:41], v[91:92], v[46:47]
	v_fma_f64 v[48:49], v[4:5], s[24:25], -v[82:83]
	v_fma_f64 v[4:5], v[4:5], s[0:1], v[30:31]
	v_add_f64 v[26:27], v[26:27], v[42:43]
	v_add_f64 v[30:31], v[84:85], v[44:45]
	;; [unrolled: 1-line block ×16, first 2 shown]
	v_mad_u32_u24 v16, 0x50, v90, v86
	ds_write2_b64 v16, v[22:23], v[14:15] offset0:2 offset1:3
	ds_write2_b64 v16, v[18:19], v[24:25] offset0:4 offset1:5
	;; [unrolled: 1-line block ×4, first 2 shown]
	ds_write2_b64 v16, v[12:13], v[20:21] offset1:1
	ds_write_b64 v16, v[8:9] offset:80
.LBB0_15:
	s_or_b32 exec_lo, exec_lo, s28
	v_and_b32_e32 v4, 0xff, v90
	s_waitcnt lgkmcnt(0)
	s_barrier
	buffer_gl0_inv
	s_mov_b32 s4, 0x37e14327
	v_mul_lo_u16 v4, 0x75, v4
	s_mov_b32 s10, 0xe976ee23
	s_mov_b32 s6, 0x429ad128
	;; [unrolled: 1-line block ×4, first 2 shown]
	v_lshrrev_b16 v4, 8, v4
	s_mov_b32 s11, 0x3fe11646
	s_mov_b32 s7, 0xbfebfeb5
	;; [unrolled: 1-line block ×4, first 2 shown]
	v_sub_nc_u16 v5, v90, v4
	s_mov_b32 s18, 0x5476071b
	s_mov_b32 s22, 0xb247c609
	;; [unrolled: 1-line block ×4, first 2 shown]
	v_lshrrev_b16 v5, 1, v5
	s_mov_b32 s21, 0xbfe77f67
	s_mov_b32 s23, 0xbfd5d0dc
	;; [unrolled: 1-line block ×4, first 2 shown]
	v_and_b32_e32 v5, 0x7f, v5
	s_mov_b32 s24, s22
	s_mov_b32 s26, 0x37c3f68c
	;; [unrolled: 1-line block ×3, first 2 shown]
	v_cmp_gt_u32_e64 s0, 0x4d, v90
	v_add_nc_u16 v4, v5, v4
	v_mov_b32_e32 v5, 6
	v_lshrrev_b16 v78, 3, v4
	v_mul_lo_u16 v4, v78, 11
	v_sub_nc_u16 v79, v90, v4
	v_mul_u32_u24_sdwa v4, v79, v5 dst_sel:DWORD dst_unused:UNUSED_PAD src0_sel:BYTE_0 src1_sel:DWORD
	v_lshlrev_b32_e32 v4, 4, v4
	s_clause 0x5
	global_load_dwordx4 v[8:11], v4, s[8:9]
	global_load_dwordx4 v[16:19], v4, s[8:9] offset:16
	global_load_dwordx4 v[20:23], v4, s[8:9] offset:80
	;; [unrolled: 1-line block ×5, first 2 shown]
	ds_read2_b64 v[12:15], v86 offset1:99
	ds_read2_b64 v[66:69], v87 offset0:70 offset1:169
	ds_read_b64 v[74:75], v86 offset:4752
	ds_read2_b64 v[70:73], v88 offset0:140 offset1:239
	s_waitcnt vmcnt(0) lgkmcnt(0)
	s_barrier
	buffer_gl0_inv
	v_mul_f64 v[4:5], v[14:15], v[10:11]
	v_mul_f64 v[24:25], v[66:67], v[18:19]
	;; [unrolled: 1-line block ×12, first 2 shown]
	v_fma_f64 v[4:5], v[52:53], v[8:9], v[4:5]
	v_fma_f64 v[26:27], v[58:59], v[16:17], v[24:25]
	;; [unrolled: 1-line block ×4, first 2 shown]
	v_fma_f64 v[14:15], v[14:15], v[8:9], -v[10:11]
	v_fma_f64 v[32:33], v[66:67], v[16:17], -v[18:19]
	v_fma_f64 v[28:29], v[60:61], v[42:43], v[36:37]
	v_fma_f64 v[36:37], v[68:69], v[42:43], -v[44:45]
	v_fma_f64 v[42:43], v[72:73], v[38:39], -v[40:41]
	v_fma_f64 v[38:39], v[54:55], v[46:47], v[76:77]
	v_fma_f64 v[40:41], v[70:71], v[46:47], -v[48:49]
	v_fma_f64 v[44:45], v[74:75], v[20:21], -v[22:23]
	v_add_f64 v[0:1], v[4:5], v[24:25]
	v_add_f64 v[10:11], v[26:27], v[30:31]
	v_add_f64 v[8:9], v[32:33], -v[42:43]
	v_add_f64 v[16:17], v[28:29], v[38:39]
	v_add_f64 v[18:19], v[40:41], -v[36:37]
	v_add_f64 v[20:21], v[14:15], -v[44:45]
	v_add_f64 v[22:23], v[10:11], v[0:1]
	v_add_f64 v[46:47], v[0:1], -v[16:17]
	v_add_f64 v[48:49], v[18:19], -v[8:9]
	;; [unrolled: 1-line block ×3, first 2 shown]
	v_add_f64 v[54:55], v[18:19], v[8:9]
	v_add_f64 v[18:19], v[20:21], -v[18:19]
	v_add_f64 v[0:1], v[10:11], -v[0:1]
	v_add_f64 v[22:23], v[16:17], v[22:23]
	v_add_f64 v[16:17], v[16:17], -v[10:11]
	v_mul_f64 v[46:47], v[46:47], s[4:5]
	v_mul_f64 v[48:49], v[48:49], s[10:11]
	;; [unrolled: 1-line block ×3, first 2 shown]
	v_add_f64 v[20:21], v[54:55], v[20:21]
	v_add_f64 v[8:9], v[50:51], v[22:23]
	v_mul_f64 v[10:11], v[16:17], s[14:15]
	v_fma_f64 v[16:17], v[16:17], s[14:15], v[46:47]
	v_fma_f64 v[50:51], v[18:19], s[22:23], v[48:49]
	v_fma_f64 v[48:49], v[52:53], s[6:7], -v[48:49]
	v_fma_f64 v[18:19], v[18:19], s[24:25], -v[56:57]
	v_fma_f64 v[46:47], v[0:1], s[20:21], -v[46:47]
	v_fma_f64 v[22:23], v[22:23], s[16:17], v[8:9]
	v_fma_f64 v[0:1], v[0:1], s[18:19], -v[10:11]
	v_fma_f64 v[50:51], v[20:21], s[26:27], v[50:51]
	v_fma_f64 v[48:49], v[20:21], s[26:27], v[48:49]
	;; [unrolled: 1-line block ×3, first 2 shown]
	v_add_f64 v[54:55], v[16:17], v[22:23]
	v_add_f64 v[46:47], v[46:47], v[22:23]
	v_add_f64 v[0:1], v[0:1], v[22:23]
	v_add_f64 v[10:11], v[50:51], v[54:55]
	v_add_f64 v[16:17], v[52:53], v[46:47]
	v_add_f64 v[18:19], v[0:1], -v[48:49]
	v_add_f64 v[20:21], v[48:49], v[0:1]
	v_add_f64 v[22:23], v[46:47], -v[52:53]
	v_add_f64 v[0:1], v[54:55], -v[50:51]
	v_mov_b32_e32 v46, 0x268
	v_mov_b32_e32 v47, 3
	v_mul_u32_u24_sdwa v46, v78, v46 dst_sel:DWORD dst_unused:UNUSED_PAD src0_sel:WORD_0 src1_sel:DWORD
	v_lshlrev_b32_sdwa v47, v47, v79 dst_sel:DWORD dst_unused:UNUSED_PAD src0_sel:DWORD src1_sel:BYTE_0
	v_add3_u32 v46, 0, v46, v47
	ds_write2_b64 v46, v[8:9], v[10:11] offset1:11
	ds_write2_b64 v46, v[16:17], v[18:19] offset0:22 offset1:33
	ds_write2_b64 v46, v[20:21], v[22:23] offset0:44 offset1:55
	ds_write_b64 v46, v[0:1] offset:528
	s_waitcnt lgkmcnt(0)
	s_barrier
	buffer_gl0_inv
	s_and_saveexec_b32 s1, s0
	s_cbranch_execz .LBB0_17
; %bb.16:
	v_add_nc_u32_e32 v0, 0x800, v86
	v_add_nc_u32_e32 v1, 0xc00, v86
	ds_read2_b64 v[8:11], v86 offset1:77
	ds_read2_b64 v[16:19], v86 offset0:154 offset1:231
	ds_read2_b64 v[20:23], v0 offset0:52 offset1:129
	;; [unrolled: 1-line block ×3, first 2 shown]
	ds_read_b64 v[64:65], v86 offset:4928
.LBB0_17:
	s_or_b32 exec_lo, exec_lo, s1
	v_add_f64 v[14:15], v[14:15], v[44:45]
	v_add_f64 v[32:33], v[32:33], v[42:43]
	v_add_f64 v[26:27], v[26:27], -v[30:31]
	v_add_f64 v[30:31], v[36:37], v[40:41]
	v_add_f64 v[28:29], v[38:39], -v[28:29]
	v_add_f64 v[4:5], v[4:5], -v[24:25]
	s_waitcnt lgkmcnt(0)
	s_barrier
	buffer_gl0_inv
	v_add_f64 v[24:25], v[32:33], v[14:15]
	v_add_f64 v[36:37], v[14:15], -v[30:31]
	v_add_f64 v[38:39], v[28:29], -v[26:27]
	;; [unrolled: 1-line block ×3, first 2 shown]
	v_add_f64 v[26:27], v[28:29], v[26:27]
	v_add_f64 v[28:29], v[4:5], -v[28:29]
	v_add_f64 v[14:15], v[32:33], -v[14:15]
	v_add_f64 v[24:25], v[30:31], v[24:25]
	v_add_f64 v[30:31], v[30:31], -v[32:33]
	v_mul_f64 v[36:37], v[36:37], s[4:5]
	v_mul_f64 v[38:39], v[38:39], s[10:11]
	;; [unrolled: 1-line block ×3, first 2 shown]
	v_add_f64 v[4:5], v[26:27], v[4:5]
	v_add_f64 v[12:13], v[12:13], v[24:25]
	v_mul_f64 v[32:33], v[30:31], s[14:15]
	v_fma_f64 v[26:27], v[30:31], s[14:15], v[36:37]
	v_fma_f64 v[30:31], v[28:29], s[22:23], v[38:39]
	v_fma_f64 v[38:39], v[40:41], s[6:7], -v[38:39]
	v_fma_f64 v[28:29], v[28:29], s[24:25], -v[42:43]
	;; [unrolled: 1-line block ×3, first 2 shown]
	v_fma_f64 v[24:25], v[24:25], s[16:17], v[12:13]
	v_fma_f64 v[14:15], v[14:15], s[18:19], -v[32:33]
	v_fma_f64 v[32:33], v[4:5], s[26:27], v[30:31]
	v_fma_f64 v[30:31], v[4:5], s[26:27], v[38:39]
	;; [unrolled: 1-line block ×3, first 2 shown]
	v_add_f64 v[38:39], v[26:27], v[24:25]
	v_add_f64 v[36:37], v[36:37], v[24:25]
	;; [unrolled: 1-line block ×3, first 2 shown]
	v_add_f64 v[14:15], v[38:39], -v[32:33]
	v_add_f64 v[24:25], v[36:37], -v[4:5]
	v_add_f64 v[26:27], v[30:31], v[28:29]
	v_add_f64 v[28:29], v[28:29], -v[30:31]
	v_add_f64 v[30:31], v[4:5], v[36:37]
	v_add_f64 v[4:5], v[32:33], v[38:39]
	ds_write2_b64 v46, v[12:13], v[14:15] offset1:11
	ds_write2_b64 v46, v[24:25], v[26:27] offset0:22 offset1:33
	ds_write2_b64 v46, v[28:29], v[30:31] offset0:44 offset1:55
	ds_write_b64 v46, v[4:5] offset:528
	s_waitcnt lgkmcnt(0)
	s_barrier
	buffer_gl0_inv
	s_and_saveexec_b32 s1, s0
	s_cbranch_execnz .LBB0_20
; %bb.18:
	s_or_b32 exec_lo, exec_lo, s1
	s_and_b32 s0, vcc_lo, s0
	s_and_saveexec_b32 s1, s0
	s_cbranch_execnz .LBB0_21
.LBB0_19:
	s_endpgm
.LBB0_20:
	v_add_nc_u32_e32 v4, 0x800, v86
	v_add_nc_u32_e32 v5, 0xc00, v86
	ds_read2_b64 v[12:15], v86 offset1:77
	ds_read2_b64 v[24:27], v86 offset0:154 offset1:231
	ds_read2_b64 v[28:31], v4 offset0:52 offset1:129
	;; [unrolled: 1-line block ×3, first 2 shown]
	ds_read_b64 v[34:35], v86 offset:4928
	s_or_b32 exec_lo, exec_lo, s1
	s_and_b32 s0, vcc_lo, s0
	s_and_saveexec_b32 s1, s0
	s_cbranch_execz .LBB0_19
.LBB0_21:
	v_lshlrev_b32_e32 v32, 3, v90
	v_mov_b32_e32 v33, 0
	v_add_nc_u32_e32 v95, 0x4d, v90
	s_mov_b32 s6, 0x8c811c17
	s_mov_b32 s7, 0x3fef838b
	v_add_nc_u32_e32 v96, 0x9a, v90
	v_lshlrev_b64 v[32:33], 4, v[32:33]
	v_mad_u64_u32 v[60:61], null, s2, v95, 0
	v_add_nc_u32_e32 v97, 0xe7, v90
	v_add_nc_u32_e32 v98, 0x134, v90
	;; [unrolled: 1-line block ×3, first 2 shown]
	v_add_co_u32 v32, vcc_lo, s8, v32
	v_add_co_ci_u32_e32 v33, vcc_lo, s9, v33, vcc_lo
	v_add_co_u32 v111, vcc_lo, s12, v62
	s_clause 0x7
	global_load_dwordx4 v[36:39], v[32:33], off offset:1104
	global_load_dwordx4 v[40:43], v[32:33], off offset:1120
	;; [unrolled: 1-line block ×8, first 2 shown]
	v_add_co_ci_u32_e32 v112, vcc_lo, s13, v63, vcc_lo
	v_mad_u64_u32 v[32:33], null, s2, v90, 0
	v_add_nc_u32_e32 v104, 0x1ce, v90
	v_mad_u64_u32 v[76:77], null, s2, v96, 0
	v_mad_u64_u32 v[78:79], null, s2, v97, 0
	;; [unrolled: 1-line block ×5, first 2 shown]
	s_mov_b32 s16, 0xa2cf5039
	s_mov_b32 s17, 0x3fe8836f
	;; [unrolled: 1-line block ×4, first 2 shown]
	v_add_nc_u32_e32 v106, 0x21b, v90
	v_add_nc_u32_e32 v107, 0x268, v90
	s_mov_b32 s14, 0x7e0b738b
	s_mov_b32 s15, 0x3fc63a1a
	;; [unrolled: 1-line block ×10, first 2 shown]
	s_waitcnt vmcnt(7) lgkmcnt(2)
	v_mul_f64 v[62:63], v[28:29], v[38:39]
	s_waitcnt vmcnt(6)
	v_mul_f64 v[74:75], v[30:31], v[42:43]
	v_mul_f64 v[38:39], v[20:21], v[38:39]
	;; [unrolled: 1-line block ×3, first 2 shown]
	s_waitcnt vmcnt(5)
	v_mul_f64 v[84:85], v[24:25], v[46:47]
	s_waitcnt vmcnt(2) lgkmcnt(0)
	v_mul_f64 v[91:92], v[34:35], v[58:59]
	v_mul_f64 v[58:59], v[64:65], v[58:59]
	;; [unrolled: 1-line block ×7, first 2 shown]
	v_fma_f64 v[20:21], v[20:21], v[36:37], v[62:63]
	v_fma_f64 v[22:23], v[22:23], v[40:41], v[74:75]
	v_fma_f64 v[28:29], v[28:29], v[36:37], -v[38:39]
	v_fma_f64 v[30:31], v[30:31], v[40:41], -v[42:43]
	s_waitcnt vmcnt(1)
	v_mul_f64 v[40:41], v[26:27], v[68:69]
	s_waitcnt vmcnt(0)
	v_mul_f64 v[42:43], v[4:5], v[72:73]
	v_fma_f64 v[34:35], v[34:35], v[56:57], -v[58:59]
	v_fma_f64 v[16:17], v[16:17], v[44:45], v[84:85]
	v_fma_f64 v[2:3], v[2:3], v[48:49], v[86:87]
	v_fma_f64 v[24:25], v[24:25], v[44:45], -v[46:47]
	v_fma_f64 v[6:7], v[6:7], v[48:49], -v[50:51]
	v_mul_f64 v[62:63], v[18:19], v[68:69]
	v_mul_f64 v[68:69], v[0:1], v[72:73]
	v_fma_f64 v[10:11], v[10:11], v[52:53], v[88:89]
	v_fma_f64 v[14:15], v[14:15], v[52:53], -v[54:55]
	v_fma_f64 v[44:45], v[64:65], v[56:57], v[91:92]
	v_mov_b32_e32 v52, v79
	v_mov_b32_e32 v53, v81
	;; [unrolled: 1-line block ×4, first 2 shown]
	v_mad_u64_u32 v[36:37], null, s2, v106, 0
	v_mad_u64_u32 v[38:39], null, s2, v107, 0
	v_add_f64 v[48:49], v[20:21], -v[22:23]
	v_add_f64 v[50:51], v[28:29], -v[30:31]
	v_fma_f64 v[18:19], v[18:19], v[66:67], v[40:41]
	v_fma_f64 v[0:1], v[0:1], v[70:71], v[42:43]
	v_mad_u64_u32 v[46:47], null, s3, v90, v[33:34]
	v_mov_b32_e32 v33, v61
	v_add_f64 v[42:43], v[16:17], v[2:3]
	v_add_f64 v[40:41], v[24:25], v[6:7]
	v_fma_f64 v[26:27], v[26:27], v[66:67], -v[62:63]
	v_add_f64 v[2:3], v[16:17], -v[2:3]
	v_mad_u64_u32 v[56:57], null, s3, v95, v[33:34]
	v_add_f64 v[6:7], v[24:25], -v[6:7]
	v_fma_f64 v[4:5], v[4:5], v[70:71], -v[68:69]
	v_add_f64 v[57:58], v[14:15], v[34:35]
	v_add_f64 v[62:63], v[10:11], v[44:45]
	;; [unrolled: 1-line block ×4, first 2 shown]
	v_add_f64 v[10:11], v[10:11], -v[44:45]
	v_add_f64 v[14:15], v[14:15], -v[34:35]
	v_mov_b32_e32 v47, v77
	v_mul_f64 v[64:65], v[48:49], s[6:7]
	v_mul_f64 v[66:67], v[50:51], s[6:7]
	v_mad_u64_u32 v[34:35], null, s3, v97, v[52:53]
	v_mad_u64_u32 v[68:69], null, s3, v96, v[47:48]
	;; [unrolled: 1-line block ×3, first 2 shown]
	v_fma_f64 v[71:72], v[40:41], s[16:17], v[12:13]
	v_fma_f64 v[73:74], v[42:43], s[16:17], v[8:9]
	v_mad_u64_u32 v[52:53], null, s3, v99, v[54:55]
	v_mul_f64 v[87:88], v[48:49], s[10:11]
	v_mul_f64 v[91:92], v[50:51], s[10:11]
	v_add_f64 v[53:54], v[26:27], v[4:5]
	v_add_f64 v[69:70], v[18:19], v[0:1]
	;; [unrolled: 1-line block ×4, first 2 shown]
	v_fma_f64 v[89:90], v[16:17], s[16:17], v[12:13]
	v_fma_f64 v[94:95], v[24:25], s[16:17], v[8:9]
	;; [unrolled: 1-line block ×4, first 2 shown]
	v_fma_f64 v[64:65], v[2:3], s[10:11], -v[64:65]
	v_fma_f64 v[66:67], v[6:7], s[10:11], -v[66:67]
	s_mov_b32 s11, 0x3fe491b7
	v_add_f64 v[0:1], v[18:19], -v[0:1]
	v_mul_f64 v[100:101], v[10:11], s[10:11]
	v_mul_f64 v[102:103], v[14:15], s[10:11]
	v_add_f64 v[4:5], v[26:27], -v[4:5]
	v_mad_u64_u32 v[104:105], null, s3, v104, v[55:56]
	v_fma_f64 v[18:19], v[16:17], s[14:15], v[71:72]
	v_fma_f64 v[26:27], v[24:25], s[14:15], v[73:74]
	v_mov_b32_e32 v61, v56
	v_fma_f64 v[73:74], v[10:11], s[6:7], v[87:88]
	v_mov_b32_e32 v33, v46
	v_mad_u64_u32 v[45:46], null, s3, v106, v[37:38]
	v_add_f64 v[55:56], v[53:54], v[83:84]
	v_add_f64 v[71:72], v[69:70], v[85:86]
	v_fma_f64 v[87:88], v[57:58], s[14:15], v[89:90]
	v_fma_f64 v[89:90], v[14:15], s[6:7], v[91:92]
	;; [unrolled: 1-line block ×5, first 2 shown]
	v_mad_u64_u32 v[46:47], null, s3, v107, v[39:40]
	v_fma_f64 v[64:65], v[0:1], s[0:1], v[64:65]
	v_fma_f64 v[98:99], v[2:3], s[6:7], v[100:101]
	;; [unrolled: 1-line block ×4, first 2 shown]
	v_mov_b32_e32 v79, v34
	v_add_f64 v[34:35], v[48:49], v[10:11]
	v_fma_f64 v[18:19], v[53:54], -0.5, v[18:19]
	v_fma_f64 v[26:27], v[69:70], -0.5, v[26:27]
	v_add_f64 v[102:103], v[12:13], v[53:54]
	v_add_f64 v[105:106], v[50:51], v[14:15]
	;; [unrolled: 1-line block ×7, first 2 shown]
	v_fma_f64 v[55:56], v[0:1], s[18:19], v[73:74]
	v_fma_f64 v[71:72], v[53:54], -0.5, v[87:88]
	v_fma_f64 v[73:74], v[4:5], s[18:19], v[89:90]
	v_fma_f64 v[86:87], v[69:70], -0.5, v[91:92]
	v_mov_b32_e32 v77, v68
	v_fma_f64 v[53:54], v[53:54], -0.5, v[94:95]
	v_fma_f64 v[68:69], v[69:70], -0.5, v[96:97]
	v_fma_f64 v[64:65], v[10:11], s[4:5], v[64:65]
	v_fma_f64 v[0:1], v[0:1], s[0:1], v[98:99]
	;; [unrolled: 1-line block ×3, first 2 shown]
	v_mov_b32_e32 v81, v44
	v_mov_b32_e32 v37, v45
	v_add_f64 v[34:35], v[34:35], -v[2:3]
	v_fma_f64 v[10:11], v[57:58], s[8:9], v[18:19]
	v_fma_f64 v[57:58], v[14:15], s[4:5], v[66:67]
	;; [unrolled: 1-line block ×3, first 2 shown]
	v_add_f64 v[44:45], v[105:106], -v[6:7]
	v_lshlrev_b64 v[32:33], 4, v[32:33]
	v_fma_f64 v[88:89], v[109:110], -0.5, v[102:103]
	v_fma_f64 v[84:85], v[84:85], -0.5, v[107:108]
	v_add_f64 v[18:19], v[30:31], v[28:29]
	v_add_f64 v[20:21], v[22:23], v[20:21]
	v_fma_f64 v[28:29], v[2:3], s[4:5], v[55:56]
	v_fma_f64 v[22:23], v[40:41], s[8:9], v[71:72]
	;; [unrolled: 1-line block ×4, first 2 shown]
	v_lshlrev_b64 v[30:31], 4, v[60:61]
	v_fma_f64 v[16:17], v[16:17], s[8:9], v[53:54]
	v_fma_f64 v[24:25], v[24:25], s[8:9], v[68:69]
	v_add_co_u32 v32, vcc_lo, v111, v32
	v_fma_f64 v[41:42], v[48:49], s[4:5], v[0:1]
	v_fma_f64 v[47:48], v[50:51], s[4:5], v[4:5]
	v_lshlrev_b64 v[49:50], 4, v[76:77]
	v_mul_f64 v[61:62], v[34:35], s[0:1]
	v_add_f64 v[6:7], v[64:65], v[10:11]
	v_add_co_ci_u32_e32 v33, vcc_lo, v112, v33, vcc_lo
	v_add_f64 v[4:5], v[14:15], -v[57:58]
	v_mul_f64 v[66:67], v[44:45], s[0:1]
	v_fma_f64 v[2:3], v[34:35], s[0:1], v[88:89]
	v_fma_f64 v[0:1], v[44:45], s[18:19], v[84:85]
	v_add_f64 v[10:11], v[12:13], v[18:19]
	v_add_f64 v[8:9], v[8:9], v[20:21]
	v_mov_b32_e32 v83, v52
	v_add_f64 v[14:15], v[28:29], v[22:23]
	v_lshlrev_b64 v[51:52], 4, v[78:79]
	v_add_f64 v[12:13], v[26:27], -v[39:40]
	v_add_co_u32 v34, vcc_lo, v111, v30
	v_add_co_ci_u32_e32 v35, vcc_lo, v112, v31, vcc_lo
	v_lshlrev_b64 v[53:54], 4, v[80:81]
	v_add_f64 v[18:19], v[41:42], v[16:17]
	v_add_f64 v[16:17], v[24:25], -v[47:48]
	v_add_co_u32 v43, vcc_lo, v111, v49
	v_fma_f64 v[26:27], v[64:65], -2.0, v[6:7]
	v_mov_b32_e32 v94, v104
	v_add_co_ci_u32_e32 v44, vcc_lo, v112, v50, vcc_lo
	v_fma_f64 v[24:25], v[57:58], 2.0, v[4:5]
	v_fma_f64 v[22:23], v[61:62], -2.0, v[2:3]
	v_fma_f64 v[20:21], v[66:67], 2.0, v[0:1]
	v_lshlrev_b64 v[55:56], 4, v[82:83]
	v_add_co_u32 v49, vcc_lo, v111, v51
	v_fma_f64 v[30:31], v[28:29], -2.0, v[14:15]
	global_store_dwordx4 v[32:33], v[8:11], off
	v_fma_f64 v[28:29], v[39:40], 2.0, v[12:13]
	v_add_co_ci_u32_e32 v50, vcc_lo, v112, v52, vcc_lo
	v_lshlrev_b64 v[59:60], 4, v[93:94]
	v_add_co_u32 v51, vcc_lo, v111, v53
	v_fma_f64 v[10:11], v[41:42], -2.0, v[18:19]
	v_fma_f64 v[8:9], v[47:48], 2.0, v[16:17]
	v_mov_b32_e32 v39, v46
	v_add_co_ci_u32_e32 v52, vcc_lo, v112, v54, vcc_lo
	global_store_dwordx4 v[34:35], v[16:19], off
	global_store_dwordx4 v[43:44], v[12:15], off
	;; [unrolled: 1-line block ×3, first 2 shown]
	v_add_co_u32 v0, vcc_lo, v111, v55
	v_lshlrev_b64 v[2:3], 4, v[36:37]
	v_add_co_ci_u32_e32 v1, vcc_lo, v112, v56, vcc_lo
	v_add_co_u32 v12, vcc_lo, v111, v59
	v_lshlrev_b64 v[14:15], 4, v[38:39]
	v_add_co_ci_u32_e32 v13, vcc_lo, v112, v60, vcc_lo
	v_add_co_u32 v2, vcc_lo, v111, v2
	v_add_co_ci_u32_e32 v3, vcc_lo, v112, v3, vcc_lo
	v_add_co_u32 v14, vcc_lo, v111, v14
	v_add_co_ci_u32_e32 v15, vcc_lo, v112, v15, vcc_lo
	global_store_dwordx4 v[51:52], v[4:7], off
	global_store_dwordx4 v[0:1], v[24:27], off
	;; [unrolled: 1-line block ×5, first 2 shown]
	s_endpgm
	.section	.rodata,"a",@progbits
	.p2align	6, 0x0
	.amdhsa_kernel fft_rtc_back_len693_factors_11_7_9_wgs_99_tpt_99_halfLds_dp_ip_CI_sbrr_dirReg
		.amdhsa_group_segment_fixed_size 0
		.amdhsa_private_segment_fixed_size 0
		.amdhsa_kernarg_size 88
		.amdhsa_user_sgpr_count 6
		.amdhsa_user_sgpr_private_segment_buffer 1
		.amdhsa_user_sgpr_dispatch_ptr 0
		.amdhsa_user_sgpr_queue_ptr 0
		.amdhsa_user_sgpr_kernarg_segment_ptr 1
		.amdhsa_user_sgpr_dispatch_id 0
		.amdhsa_user_sgpr_flat_scratch_init 0
		.amdhsa_user_sgpr_private_segment_size 0
		.amdhsa_wavefront_size32 1
		.amdhsa_uses_dynamic_stack 0
		.amdhsa_system_sgpr_private_segment_wavefront_offset 0
		.amdhsa_system_sgpr_workgroup_id_x 1
		.amdhsa_system_sgpr_workgroup_id_y 0
		.amdhsa_system_sgpr_workgroup_id_z 0
		.amdhsa_system_sgpr_workgroup_info 0
		.amdhsa_system_vgpr_workitem_id 0
		.amdhsa_next_free_vgpr 121
		.amdhsa_next_free_sgpr 40
		.amdhsa_reserve_vcc 1
		.amdhsa_reserve_flat_scratch 0
		.amdhsa_float_round_mode_32 0
		.amdhsa_float_round_mode_16_64 0
		.amdhsa_float_denorm_mode_32 3
		.amdhsa_float_denorm_mode_16_64 3
		.amdhsa_dx10_clamp 1
		.amdhsa_ieee_mode 1
		.amdhsa_fp16_overflow 0
		.amdhsa_workgroup_processor_mode 1
		.amdhsa_memory_ordered 1
		.amdhsa_forward_progress 0
		.amdhsa_shared_vgpr_count 0
		.amdhsa_exception_fp_ieee_invalid_op 0
		.amdhsa_exception_fp_denorm_src 0
		.amdhsa_exception_fp_ieee_div_zero 0
		.amdhsa_exception_fp_ieee_overflow 0
		.amdhsa_exception_fp_ieee_underflow 0
		.amdhsa_exception_fp_ieee_inexact 0
		.amdhsa_exception_int_div_zero 0
	.end_amdhsa_kernel
	.text
.Lfunc_end0:
	.size	fft_rtc_back_len693_factors_11_7_9_wgs_99_tpt_99_halfLds_dp_ip_CI_sbrr_dirReg, .Lfunc_end0-fft_rtc_back_len693_factors_11_7_9_wgs_99_tpt_99_halfLds_dp_ip_CI_sbrr_dirReg
                                        ; -- End function
	.section	.AMDGPU.csdata,"",@progbits
; Kernel info:
; codeLenInByte = 8396
; NumSgprs: 42
; NumVgprs: 121
; ScratchSize: 0
; MemoryBound: 1
; FloatMode: 240
; IeeeMode: 1
; LDSByteSize: 0 bytes/workgroup (compile time only)
; SGPRBlocks: 5
; VGPRBlocks: 15
; NumSGPRsForWavesPerEU: 42
; NumVGPRsForWavesPerEU: 121
; Occupancy: 8
; WaveLimiterHint : 1
; COMPUTE_PGM_RSRC2:SCRATCH_EN: 0
; COMPUTE_PGM_RSRC2:USER_SGPR: 6
; COMPUTE_PGM_RSRC2:TRAP_HANDLER: 0
; COMPUTE_PGM_RSRC2:TGID_X_EN: 1
; COMPUTE_PGM_RSRC2:TGID_Y_EN: 0
; COMPUTE_PGM_RSRC2:TGID_Z_EN: 0
; COMPUTE_PGM_RSRC2:TIDIG_COMP_CNT: 0
	.text
	.p2alignl 6, 3214868480
	.fill 48, 4, 3214868480
	.type	__hip_cuid_1b1eba343076c23,@object ; @__hip_cuid_1b1eba343076c23
	.section	.bss,"aw",@nobits
	.globl	__hip_cuid_1b1eba343076c23
__hip_cuid_1b1eba343076c23:
	.byte	0                               ; 0x0
	.size	__hip_cuid_1b1eba343076c23, 1

	.ident	"AMD clang version 19.0.0git (https://github.com/RadeonOpenCompute/llvm-project roc-6.4.0 25133 c7fe45cf4b819c5991fe208aaa96edf142730f1d)"
	.section	".note.GNU-stack","",@progbits
	.addrsig
	.addrsig_sym __hip_cuid_1b1eba343076c23
	.amdgpu_metadata
---
amdhsa.kernels:
  - .args:
      - .actual_access:  read_only
        .address_space:  global
        .offset:         0
        .size:           8
        .value_kind:     global_buffer
      - .offset:         8
        .size:           8
        .value_kind:     by_value
      - .actual_access:  read_only
        .address_space:  global
        .offset:         16
        .size:           8
        .value_kind:     global_buffer
      - .actual_access:  read_only
        .address_space:  global
        .offset:         24
        .size:           8
        .value_kind:     global_buffer
      - .offset:         32
        .size:           8
        .value_kind:     by_value
      - .actual_access:  read_only
        .address_space:  global
        .offset:         40
        .size:           8
        .value_kind:     global_buffer
      - .actual_access:  read_only
        .address_space:  global
        .offset:         48
        .size:           8
        .value_kind:     global_buffer
      - .offset:         56
        .size:           4
        .value_kind:     by_value
      - .actual_access:  read_only
        .address_space:  global
        .offset:         64
        .size:           8
        .value_kind:     global_buffer
      - .actual_access:  read_only
        .address_space:  global
        .offset:         72
        .size:           8
        .value_kind:     global_buffer
      - .address_space:  global
        .offset:         80
        .size:           8
        .value_kind:     global_buffer
    .group_segment_fixed_size: 0
    .kernarg_segment_align: 8
    .kernarg_segment_size: 88
    .language:       OpenCL C
    .language_version:
      - 2
      - 0
    .max_flat_workgroup_size: 99
    .name:           fft_rtc_back_len693_factors_11_7_9_wgs_99_tpt_99_halfLds_dp_ip_CI_sbrr_dirReg
    .private_segment_fixed_size: 0
    .sgpr_count:     42
    .sgpr_spill_count: 0
    .symbol:         fft_rtc_back_len693_factors_11_7_9_wgs_99_tpt_99_halfLds_dp_ip_CI_sbrr_dirReg.kd
    .uniform_work_group_size: 1
    .uses_dynamic_stack: false
    .vgpr_count:     121
    .vgpr_spill_count: 0
    .wavefront_size: 32
    .workgroup_processor_mode: 1
amdhsa.target:   amdgcn-amd-amdhsa--gfx1030
amdhsa.version:
  - 1
  - 2
...

	.end_amdgpu_metadata
